;; amdgpu-corpus repo=LLNL/RAJAPerf kind=compiled arch=gfx906 opt=O3
	.amdgcn_target "amdgcn-amd-amdhsa--gfx906"
	.amdhsa_code_object_version 6
	.section	.text._ZN8rajaperf9polybench19poly_floyd_warshallILm32ELm8EEEvPdS2_ll,"axG",@progbits,_ZN8rajaperf9polybench19poly_floyd_warshallILm32ELm8EEEvPdS2_ll,comdat
	.protected	_ZN8rajaperf9polybench19poly_floyd_warshallILm32ELm8EEEvPdS2_ll ; -- Begin function _ZN8rajaperf9polybench19poly_floyd_warshallILm32ELm8EEEvPdS2_ll
	.globl	_ZN8rajaperf9polybench19poly_floyd_warshallILm32ELm8EEEvPdS2_ll
	.p2align	8
	.type	_ZN8rajaperf9polybench19poly_floyd_warshallILm32ELm8EEEvPdS2_ll,@function
_ZN8rajaperf9polybench19poly_floyd_warshallILm32ELm8EEEvPdS2_ll: ; @_ZN8rajaperf9polybench19poly_floyd_warshallILm32ELm8EEEvPdS2_ll
; %bb.0:
	s_mov_b32 s0, s7
	s_mov_b32 s1, 0
	s_load_dwordx8 s[8:15], s[4:5], 0x0
	s_lshl_b64 s[2:3], s[0:1], 3
	v_mov_b32_e32 v3, s3
	v_add_co_u32_e32 v2, vcc, s2, v1
	s_mov_b32 s7, s1
	v_addc_co_u32_e32 v3, vcc, 0, v3, vcc
	s_lshl_b64 s[0:1], s[6:7], 5
	v_mov_b32_e32 v1, s1
	v_add_co_u32_e32 v0, vcc, s0, v0
	v_addc_co_u32_e32 v1, vcc, 0, v1, vcc
	s_waitcnt lgkmcnt(0)
	v_cmp_gt_i64_e32 vcc, s[14:15], v[2:3]
	v_cmp_gt_i64_e64 s[0:1], s[14:15], v[0:1]
	s_and_b64 s[0:1], vcc, s[0:1]
	s_and_saveexec_b64 s[2:3], s[0:1]
	s_cbranch_execz .LBB0_2
; %bb.1:
	v_mul_lo_u32 v4, s15, v2
	v_mul_lo_u32 v5, s14, v3
	v_mad_u64_u32 v[2:3], s[0:1], s14, v2, 0
	s_lshl_b64 s[0:1], s[12:13], 3
	s_add_u32 s0, s10, s0
	v_add3_u32 v3, v3, v5, v4
	v_lshlrev_b64 v[4:5], 3, v[2:3]
	s_addc_u32 s1, s11, s1
	v_mov_b32_e32 v6, s1
	v_add_co_u32_e32 v4, vcc, s0, v4
	v_addc_co_u32_e32 v5, vcc, v6, v5, vcc
	s_mul_i32 s0, s14, s13
	s_mul_hi_u32 s1, s14, s12
	v_lshlrev_b64 v[6:7], 3, v[0:1]
	s_add_i32 s0, s1, s0
	s_mul_i32 s1, s15, s12
	s_add_i32 s1, s0, s1
	s_mul_i32 s0, s14, s12
	v_mov_b32_e32 v8, s11
	v_add_co_u32_e32 v6, vcc, s10, v6
	v_addc_co_u32_e32 v7, vcc, v8, v7, vcc
	s_lshl_b64 s[0:1], s[0:1], 3
	v_mov_b32_e32 v8, s1
	v_add_co_u32_e32 v6, vcc, s0, v6
	v_addc_co_u32_e32 v7, vcc, v7, v8, vcc
	global_load_dwordx2 v[8:9], v[4:5], off
	global_load_dwordx2 v[10:11], v[6:7], off
	v_add_co_u32_e32 v0, vcc, v2, v0
	v_addc_co_u32_e32 v1, vcc, v3, v1, vcc
	v_lshlrev_b64 v[0:1], 3, v[0:1]
	v_mov_b32_e32 v3, s11
	v_add_co_u32_e32 v2, vcc, s10, v0
	v_addc_co_u32_e32 v3, vcc, v3, v1, vcc
	global_load_dwordx2 v[2:3], v[2:3], off
	v_mov_b32_e32 v6, s9
	s_waitcnt vmcnt(1)
	v_add_f64 v[4:5], v[8:9], v[10:11]
	s_waitcnt vmcnt(0)
	v_cmp_lt_f64_e32 vcc, v[2:3], v[4:5]
	v_cndmask_b32_e32 v3, v5, v3, vcc
	v_cndmask_b32_e32 v2, v4, v2, vcc
	v_add_co_u32_e32 v0, vcc, s8, v0
	v_addc_co_u32_e32 v1, vcc, v6, v1, vcc
	global_store_dwordx2 v[0:1], v[2:3], off
.LBB0_2:
	s_endpgm
	.section	.rodata,"a",@progbits
	.p2align	6, 0x0
	.amdhsa_kernel _ZN8rajaperf9polybench19poly_floyd_warshallILm32ELm8EEEvPdS2_ll
		.amdhsa_group_segment_fixed_size 0
		.amdhsa_private_segment_fixed_size 0
		.amdhsa_kernarg_size 32
		.amdhsa_user_sgpr_count 6
		.amdhsa_user_sgpr_private_segment_buffer 1
		.amdhsa_user_sgpr_dispatch_ptr 0
		.amdhsa_user_sgpr_queue_ptr 0
		.amdhsa_user_sgpr_kernarg_segment_ptr 1
		.amdhsa_user_sgpr_dispatch_id 0
		.amdhsa_user_sgpr_flat_scratch_init 0
		.amdhsa_user_sgpr_private_segment_size 0
		.amdhsa_uses_dynamic_stack 0
		.amdhsa_system_sgpr_private_segment_wavefront_offset 0
		.amdhsa_system_sgpr_workgroup_id_x 1
		.amdhsa_system_sgpr_workgroup_id_y 1
		.amdhsa_system_sgpr_workgroup_id_z 0
		.amdhsa_system_sgpr_workgroup_info 0
		.amdhsa_system_vgpr_workitem_id 1
		.amdhsa_next_free_vgpr 12
		.amdhsa_next_free_sgpr 16
		.amdhsa_reserve_vcc 1
		.amdhsa_reserve_flat_scratch 0
		.amdhsa_float_round_mode_32 0
		.amdhsa_float_round_mode_16_64 0
		.amdhsa_float_denorm_mode_32 3
		.amdhsa_float_denorm_mode_16_64 3
		.amdhsa_dx10_clamp 1
		.amdhsa_ieee_mode 1
		.amdhsa_fp16_overflow 0
		.amdhsa_exception_fp_ieee_invalid_op 0
		.amdhsa_exception_fp_denorm_src 0
		.amdhsa_exception_fp_ieee_div_zero 0
		.amdhsa_exception_fp_ieee_overflow 0
		.amdhsa_exception_fp_ieee_underflow 0
		.amdhsa_exception_fp_ieee_inexact 0
		.amdhsa_exception_int_div_zero 0
	.end_amdhsa_kernel
	.section	.text._ZN8rajaperf9polybench19poly_floyd_warshallILm32ELm8EEEvPdS2_ll,"axG",@progbits,_ZN8rajaperf9polybench19poly_floyd_warshallILm32ELm8EEEvPdS2_ll,comdat
.Lfunc_end0:
	.size	_ZN8rajaperf9polybench19poly_floyd_warshallILm32ELm8EEEvPdS2_ll, .Lfunc_end0-_ZN8rajaperf9polybench19poly_floyd_warshallILm32ELm8EEEvPdS2_ll
                                        ; -- End function
	.set _ZN8rajaperf9polybench19poly_floyd_warshallILm32ELm8EEEvPdS2_ll.num_vgpr, 12
	.set _ZN8rajaperf9polybench19poly_floyd_warshallILm32ELm8EEEvPdS2_ll.num_agpr, 0
	.set _ZN8rajaperf9polybench19poly_floyd_warshallILm32ELm8EEEvPdS2_ll.numbered_sgpr, 16
	.set _ZN8rajaperf9polybench19poly_floyd_warshallILm32ELm8EEEvPdS2_ll.num_named_barrier, 0
	.set _ZN8rajaperf9polybench19poly_floyd_warshallILm32ELm8EEEvPdS2_ll.private_seg_size, 0
	.set _ZN8rajaperf9polybench19poly_floyd_warshallILm32ELm8EEEvPdS2_ll.uses_vcc, 1
	.set _ZN8rajaperf9polybench19poly_floyd_warshallILm32ELm8EEEvPdS2_ll.uses_flat_scratch, 0
	.set _ZN8rajaperf9polybench19poly_floyd_warshallILm32ELm8EEEvPdS2_ll.has_dyn_sized_stack, 0
	.set _ZN8rajaperf9polybench19poly_floyd_warshallILm32ELm8EEEvPdS2_ll.has_recursion, 0
	.set _ZN8rajaperf9polybench19poly_floyd_warshallILm32ELm8EEEvPdS2_ll.has_indirect_call, 0
	.section	.AMDGPU.csdata,"",@progbits
; Kernel info:
; codeLenInByte = 308
; TotalNumSgprs: 20
; NumVgprs: 12
; ScratchSize: 0
; MemoryBound: 0
; FloatMode: 240
; IeeeMode: 1
; LDSByteSize: 0 bytes/workgroup (compile time only)
; SGPRBlocks: 2
; VGPRBlocks: 2
; NumSGPRsForWavesPerEU: 20
; NumVGPRsForWavesPerEU: 12
; Occupancy: 10
; WaveLimiterHint : 0
; COMPUTE_PGM_RSRC2:SCRATCH_EN: 0
; COMPUTE_PGM_RSRC2:USER_SGPR: 6
; COMPUTE_PGM_RSRC2:TRAP_HANDLER: 0
; COMPUTE_PGM_RSRC2:TGID_X_EN: 1
; COMPUTE_PGM_RSRC2:TGID_Y_EN: 1
; COMPUTE_PGM_RSRC2:TGID_Z_EN: 0
; COMPUTE_PGM_RSRC2:TIDIG_COMP_CNT: 1
	.section	.text._ZN8rajaperf9polybench23poly_floyd_warshall_lamILm32ELm8EZNS0_24POLYBENCH_FLOYD_WARSHALL17runHipVariantImplILm256EEEvNS_9VariantIDEEUlllE_EEvlT1_,"axG",@progbits,_ZN8rajaperf9polybench23poly_floyd_warshall_lamILm32ELm8EZNS0_24POLYBENCH_FLOYD_WARSHALL17runHipVariantImplILm256EEEvNS_9VariantIDEEUlllE_EEvlT1_,comdat
	.protected	_ZN8rajaperf9polybench23poly_floyd_warshall_lamILm32ELm8EZNS0_24POLYBENCH_FLOYD_WARSHALL17runHipVariantImplILm256EEEvNS_9VariantIDEEUlllE_EEvlT1_ ; -- Begin function _ZN8rajaperf9polybench23poly_floyd_warshall_lamILm32ELm8EZNS0_24POLYBENCH_FLOYD_WARSHALL17runHipVariantImplILm256EEEvNS_9VariantIDEEUlllE_EEvlT1_
	.globl	_ZN8rajaperf9polybench23poly_floyd_warshall_lamILm32ELm8EZNS0_24POLYBENCH_FLOYD_WARSHALL17runHipVariantImplILm256EEEvNS_9VariantIDEEUlllE_EEvlT1_
	.p2align	8
	.type	_ZN8rajaperf9polybench23poly_floyd_warshall_lamILm32ELm8EZNS0_24POLYBENCH_FLOYD_WARSHALL17runHipVariantImplILm256EEEvNS_9VariantIDEEUlllE_EEvlT1_,@function
_ZN8rajaperf9polybench23poly_floyd_warshall_lamILm32ELm8EZNS0_24POLYBENCH_FLOYD_WARSHALL17runHipVariantImplILm256EEEvNS_9VariantIDEEUlllE_EEvlT1_: ; @_ZN8rajaperf9polybench23poly_floyd_warshall_lamILm32ELm8EZNS0_24POLYBENCH_FLOYD_WARSHALL17runHipVariantImplILm256EEEvNS_9VariantIDEEUlllE_EEvlT1_
; %bb.0:
	s_mov_b32 s0, s7
	s_mov_b32 s1, 0
	s_load_dwordx2 s[2:3], s[4:5], 0x0
	s_lshl_b64 s[8:9], s[0:1], 3
	v_mov_b32_e32 v2, s9
	v_add_co_u32_e32 v1, vcc, s8, v1
	s_mov_b32 s7, s1
	v_addc_co_u32_e32 v2, vcc, 0, v2, vcc
	s_lshl_b64 s[0:1], s[6:7], 5
	v_mov_b32_e32 v4, s1
	v_add_co_u32_e32 v3, vcc, s0, v0
	v_addc_co_u32_e32 v4, vcc, 0, v4, vcc
	s_waitcnt lgkmcnt(0)
	v_cmp_gt_i64_e32 vcc, s[2:3], v[1:2]
	v_cmp_gt_i64_e64 s[0:1], s[2:3], v[3:4]
	s_and_b64 s[0:1], vcc, s[0:1]
	s_and_saveexec_b64 s[2:3], s[0:1]
	s_cbranch_execz .LBB1_2
; %bb.1:
	s_load_dwordx8 s[8:15], s[4:5], 0x8
	s_waitcnt lgkmcnt(0)
	v_mul_lo_u32 v5, s11, v1
	v_mul_lo_u32 v6, s10, v2
	v_mad_u64_u32 v[0:1], s[0:1], s10, v1, 0
	v_lshlrev_b64 v[2:3], 3, v[3:4]
	s_lshl_b64 s[0:1], s[14:15], 3
	v_add3_u32 v1, v1, v6, v5
	v_mov_b32_e32 v4, s13
	v_add_co_u32_e32 v12, vcc, s12, v2
	v_lshlrev_b64 v[0:1], 3, v[0:1]
	s_add_u32 s0, s12, s0
	v_addc_co_u32_e32 v13, vcc, v4, v3, vcc
	s_addc_u32 s1, s13, s1
	v_mov_b32_e32 v5, s1
	v_add_co_u32_e32 v4, vcc, s0, v0
	s_mul_i32 s0, s10, s15
	s_mul_hi_u32 s1, s10, s14
	s_add_i32 s0, s1, s0
	s_mul_i32 s1, s11, s14
	s_add_i32 s1, s0, s1
	s_mul_i32 s0, s10, s14
	v_addc_co_u32_e32 v5, vcc, v5, v1, vcc
	s_lshl_b64 s[0:1], s[0:1], 3
	v_mov_b32_e32 v7, s1
	v_add_co_u32_e32 v6, vcc, s0, v12
	v_addc_co_u32_e32 v7, vcc, v13, v7, vcc
	global_load_dwordx2 v[8:9], v[4:5], off
	global_load_dwordx2 v[10:11], v[6:7], off
	v_add_co_u32_e32 v4, vcc, v12, v0
	v_addc_co_u32_e32 v5, vcc, v13, v1, vcc
	global_load_dwordx2 v[4:5], v[4:5], off
	s_waitcnt vmcnt(1)
	v_add_f64 v[6:7], v[8:9], v[10:11]
	v_mov_b32_e32 v8, s9
	v_add_co_u32_e64 v9, s[0:1], s8, v2
	v_addc_co_u32_e64 v8, s[0:1], v8, v3, s[0:1]
	s_waitcnt vmcnt(0)
	v_cmp_lt_f64_e32 vcc, v[4:5], v[6:7]
	v_cndmask_b32_e32 v3, v7, v5, vcc
	v_cndmask_b32_e32 v2, v6, v4, vcc
	v_add_co_u32_e32 v0, vcc, v9, v0
	v_addc_co_u32_e32 v1, vcc, v8, v1, vcc
	global_store_dwordx2 v[0:1], v[2:3], off
.LBB1_2:
	s_endpgm
	.section	.rodata,"a",@progbits
	.p2align	6, 0x0
	.amdhsa_kernel _ZN8rajaperf9polybench23poly_floyd_warshall_lamILm32ELm8EZNS0_24POLYBENCH_FLOYD_WARSHALL17runHipVariantImplILm256EEEvNS_9VariantIDEEUlllE_EEvlT1_
		.amdhsa_group_segment_fixed_size 0
		.amdhsa_private_segment_fixed_size 0
		.amdhsa_kernarg_size 40
		.amdhsa_user_sgpr_count 6
		.amdhsa_user_sgpr_private_segment_buffer 1
		.amdhsa_user_sgpr_dispatch_ptr 0
		.amdhsa_user_sgpr_queue_ptr 0
		.amdhsa_user_sgpr_kernarg_segment_ptr 1
		.amdhsa_user_sgpr_dispatch_id 0
		.amdhsa_user_sgpr_flat_scratch_init 0
		.amdhsa_user_sgpr_private_segment_size 0
		.amdhsa_uses_dynamic_stack 0
		.amdhsa_system_sgpr_private_segment_wavefront_offset 0
		.amdhsa_system_sgpr_workgroup_id_x 1
		.amdhsa_system_sgpr_workgroup_id_y 1
		.amdhsa_system_sgpr_workgroup_id_z 0
		.amdhsa_system_sgpr_workgroup_info 0
		.amdhsa_system_vgpr_workitem_id 1
		.amdhsa_next_free_vgpr 14
		.amdhsa_next_free_sgpr 16
		.amdhsa_reserve_vcc 1
		.amdhsa_reserve_flat_scratch 0
		.amdhsa_float_round_mode_32 0
		.amdhsa_float_round_mode_16_64 0
		.amdhsa_float_denorm_mode_32 3
		.amdhsa_float_denorm_mode_16_64 3
		.amdhsa_dx10_clamp 1
		.amdhsa_ieee_mode 1
		.amdhsa_fp16_overflow 0
		.amdhsa_exception_fp_ieee_invalid_op 0
		.amdhsa_exception_fp_denorm_src 0
		.amdhsa_exception_fp_ieee_div_zero 0
		.amdhsa_exception_fp_ieee_overflow 0
		.amdhsa_exception_fp_ieee_underflow 0
		.amdhsa_exception_fp_ieee_inexact 0
		.amdhsa_exception_int_div_zero 0
	.end_amdhsa_kernel
	.section	.text._ZN8rajaperf9polybench23poly_floyd_warshall_lamILm32ELm8EZNS0_24POLYBENCH_FLOYD_WARSHALL17runHipVariantImplILm256EEEvNS_9VariantIDEEUlllE_EEvlT1_,"axG",@progbits,_ZN8rajaperf9polybench23poly_floyd_warshall_lamILm32ELm8EZNS0_24POLYBENCH_FLOYD_WARSHALL17runHipVariantImplILm256EEEvNS_9VariantIDEEUlllE_EEvlT1_,comdat
.Lfunc_end1:
	.size	_ZN8rajaperf9polybench23poly_floyd_warshall_lamILm32ELm8EZNS0_24POLYBENCH_FLOYD_WARSHALL17runHipVariantImplILm256EEEvNS_9VariantIDEEUlllE_EEvlT1_, .Lfunc_end1-_ZN8rajaperf9polybench23poly_floyd_warshall_lamILm32ELm8EZNS0_24POLYBENCH_FLOYD_WARSHALL17runHipVariantImplILm256EEEvNS_9VariantIDEEUlllE_EEvlT1_
                                        ; -- End function
	.set _ZN8rajaperf9polybench23poly_floyd_warshall_lamILm32ELm8EZNS0_24POLYBENCH_FLOYD_WARSHALL17runHipVariantImplILm256EEEvNS_9VariantIDEEUlllE_EEvlT1_.num_vgpr, 14
	.set _ZN8rajaperf9polybench23poly_floyd_warshall_lamILm32ELm8EZNS0_24POLYBENCH_FLOYD_WARSHALL17runHipVariantImplILm256EEEvNS_9VariantIDEEUlllE_EEvlT1_.num_agpr, 0
	.set _ZN8rajaperf9polybench23poly_floyd_warshall_lamILm32ELm8EZNS0_24POLYBENCH_FLOYD_WARSHALL17runHipVariantImplILm256EEEvNS_9VariantIDEEUlllE_EEvlT1_.numbered_sgpr, 16
	.set _ZN8rajaperf9polybench23poly_floyd_warshall_lamILm32ELm8EZNS0_24POLYBENCH_FLOYD_WARSHALL17runHipVariantImplILm256EEEvNS_9VariantIDEEUlllE_EEvlT1_.num_named_barrier, 0
	.set _ZN8rajaperf9polybench23poly_floyd_warshall_lamILm32ELm8EZNS0_24POLYBENCH_FLOYD_WARSHALL17runHipVariantImplILm256EEEvNS_9VariantIDEEUlllE_EEvlT1_.private_seg_size, 0
	.set _ZN8rajaperf9polybench23poly_floyd_warshall_lamILm32ELm8EZNS0_24POLYBENCH_FLOYD_WARSHALL17runHipVariantImplILm256EEEvNS_9VariantIDEEUlllE_EEvlT1_.uses_vcc, 1
	.set _ZN8rajaperf9polybench23poly_floyd_warshall_lamILm32ELm8EZNS0_24POLYBENCH_FLOYD_WARSHALL17runHipVariantImplILm256EEEvNS_9VariantIDEEUlllE_EEvlT1_.uses_flat_scratch, 0
	.set _ZN8rajaperf9polybench23poly_floyd_warshall_lamILm32ELm8EZNS0_24POLYBENCH_FLOYD_WARSHALL17runHipVariantImplILm256EEEvNS_9VariantIDEEUlllE_EEvlT1_.has_dyn_sized_stack, 0
	.set _ZN8rajaperf9polybench23poly_floyd_warshall_lamILm32ELm8EZNS0_24POLYBENCH_FLOYD_WARSHALL17runHipVariantImplILm256EEEvNS_9VariantIDEEUlllE_EEvlT1_.has_recursion, 0
	.set _ZN8rajaperf9polybench23poly_floyd_warshall_lamILm32ELm8EZNS0_24POLYBENCH_FLOYD_WARSHALL17runHipVariantImplILm256EEEvNS_9VariantIDEEUlllE_EEvlT1_.has_indirect_call, 0
	.section	.AMDGPU.csdata,"",@progbits
; Kernel info:
; codeLenInByte = 316
; TotalNumSgprs: 20
; NumVgprs: 14
; ScratchSize: 0
; MemoryBound: 0
; FloatMode: 240
; IeeeMode: 1
; LDSByteSize: 0 bytes/workgroup (compile time only)
; SGPRBlocks: 2
; VGPRBlocks: 3
; NumSGPRsForWavesPerEU: 20
; NumVGPRsForWavesPerEU: 14
; Occupancy: 10
; WaveLimiterHint : 0
; COMPUTE_PGM_RSRC2:SCRATCH_EN: 0
; COMPUTE_PGM_RSRC2:USER_SGPR: 6
; COMPUTE_PGM_RSRC2:TRAP_HANDLER: 0
; COMPUTE_PGM_RSRC2:TGID_X_EN: 1
; COMPUTE_PGM_RSRC2:TGID_Y_EN: 1
; COMPUTE_PGM_RSRC2:TGID_Z_EN: 0
; COMPUTE_PGM_RSRC2:TIDIG_COMP_CNT: 1
	.section	.text._ZN4RAJA8internal22HipKernelLauncherFixedILi256ENS0_8LoopDataIN4camp5tupleIJNS_4SpanINS_9Iterators16numeric_iteratorIllPlEElEESA_SA_EEENS4_IJEEENS3_9resources2v13HipEJZN8rajaperf9polybench24POLYBENCH_FLOYD_WARSHALL17runHipVariantImplILm256EEEvNSG_9VariantIDEEUllllE_EEENS0_24HipStatementListExecutorISM_NS3_4listIJNS_9statement3ForILl1ENS_6policy3hip11hip_indexerINS_17iteration_mapping6DirectELNS_23kernel_sync_requirementE0EJNS_3hip11IndexGlobalILNS_9named_dimE1ELi8ELi0EEEEEEJNSQ_ILl2ENST_ISV_LSW_0EJNSY_ILSZ_0ELi32ELi0EEEEEEJNSP_6LambdaILl0EJEEEEEEEEEEEENS0_9LoopTypesINSO_IJlvvEEES1A_EEEEEEvT0_,"axG",@progbits,_ZN4RAJA8internal22HipKernelLauncherFixedILi256ENS0_8LoopDataIN4camp5tupleIJNS_4SpanINS_9Iterators16numeric_iteratorIllPlEElEESA_SA_EEENS4_IJEEENS3_9resources2v13HipEJZN8rajaperf9polybench24POLYBENCH_FLOYD_WARSHALL17runHipVariantImplILm256EEEvNSG_9VariantIDEEUllllE_EEENS0_24HipStatementListExecutorISM_NS3_4listIJNS_9statement3ForILl1ENS_6policy3hip11hip_indexerINS_17iteration_mapping6DirectELNS_23kernel_sync_requirementE0EJNS_3hip11IndexGlobalILNS_9named_dimE1ELi8ELi0EEEEEEJNSQ_ILl2ENST_ISV_LSW_0EJNSY_ILSZ_0ELi32ELi0EEEEEEJNSP_6LambdaILl0EJEEEEEEEEEEEENS0_9LoopTypesINSO_IJlvvEEES1A_EEEEEEvT0_,comdat
	.protected	_ZN4RAJA8internal22HipKernelLauncherFixedILi256ENS0_8LoopDataIN4camp5tupleIJNS_4SpanINS_9Iterators16numeric_iteratorIllPlEElEESA_SA_EEENS4_IJEEENS3_9resources2v13HipEJZN8rajaperf9polybench24POLYBENCH_FLOYD_WARSHALL17runHipVariantImplILm256EEEvNSG_9VariantIDEEUllllE_EEENS0_24HipStatementListExecutorISM_NS3_4listIJNS_9statement3ForILl1ENS_6policy3hip11hip_indexerINS_17iteration_mapping6DirectELNS_23kernel_sync_requirementE0EJNS_3hip11IndexGlobalILNS_9named_dimE1ELi8ELi0EEEEEEJNSQ_ILl2ENST_ISV_LSW_0EJNSY_ILSZ_0ELi32ELi0EEEEEEJNSP_6LambdaILl0EJEEEEEEEEEEEENS0_9LoopTypesINSO_IJlvvEEES1A_EEEEEEvT0_ ; -- Begin function _ZN4RAJA8internal22HipKernelLauncherFixedILi256ENS0_8LoopDataIN4camp5tupleIJNS_4SpanINS_9Iterators16numeric_iteratorIllPlEElEESA_SA_EEENS4_IJEEENS3_9resources2v13HipEJZN8rajaperf9polybench24POLYBENCH_FLOYD_WARSHALL17runHipVariantImplILm256EEEvNSG_9VariantIDEEUllllE_EEENS0_24HipStatementListExecutorISM_NS3_4listIJNS_9statement3ForILl1ENS_6policy3hip11hip_indexerINS_17iteration_mapping6DirectELNS_23kernel_sync_requirementE0EJNS_3hip11IndexGlobalILNS_9named_dimE1ELi8ELi0EEEEEEJNSQ_ILl2ENST_ISV_LSW_0EJNSY_ILSZ_0ELi32ELi0EEEEEEJNSP_6LambdaILl0EJEEEEEEEEEEEENS0_9LoopTypesINSO_IJlvvEEES1A_EEEEEEvT0_
	.globl	_ZN4RAJA8internal22HipKernelLauncherFixedILi256ENS0_8LoopDataIN4camp5tupleIJNS_4SpanINS_9Iterators16numeric_iteratorIllPlEElEESA_SA_EEENS4_IJEEENS3_9resources2v13HipEJZN8rajaperf9polybench24POLYBENCH_FLOYD_WARSHALL17runHipVariantImplILm256EEEvNSG_9VariantIDEEUllllE_EEENS0_24HipStatementListExecutorISM_NS3_4listIJNS_9statement3ForILl1ENS_6policy3hip11hip_indexerINS_17iteration_mapping6DirectELNS_23kernel_sync_requirementE0EJNS_3hip11IndexGlobalILNS_9named_dimE1ELi8ELi0EEEEEEJNSQ_ILl2ENST_ISV_LSW_0EJNSY_ILSZ_0ELi32ELi0EEEEEEJNSP_6LambdaILl0EJEEEEEEEEEEEENS0_9LoopTypesINSO_IJlvvEEES1A_EEEEEEvT0_
	.p2align	8
	.type	_ZN4RAJA8internal22HipKernelLauncherFixedILi256ENS0_8LoopDataIN4camp5tupleIJNS_4SpanINS_9Iterators16numeric_iteratorIllPlEElEESA_SA_EEENS4_IJEEENS3_9resources2v13HipEJZN8rajaperf9polybench24POLYBENCH_FLOYD_WARSHALL17runHipVariantImplILm256EEEvNSG_9VariantIDEEUllllE_EEENS0_24HipStatementListExecutorISM_NS3_4listIJNS_9statement3ForILl1ENS_6policy3hip11hip_indexerINS_17iteration_mapping6DirectELNS_23kernel_sync_requirementE0EJNS_3hip11IndexGlobalILNS_9named_dimE1ELi8ELi0EEEEEEJNSQ_ILl2ENST_ISV_LSW_0EJNSY_ILSZ_0ELi32ELi0EEEEEEJNSP_6LambdaILl0EJEEEEEEEEEEEENS0_9LoopTypesINSO_IJlvvEEES1A_EEEEEEvT0_,@function
_ZN4RAJA8internal22HipKernelLauncherFixedILi256ENS0_8LoopDataIN4camp5tupleIJNS_4SpanINS_9Iterators16numeric_iteratorIllPlEElEESA_SA_EEENS4_IJEEENS3_9resources2v13HipEJZN8rajaperf9polybench24POLYBENCH_FLOYD_WARSHALL17runHipVariantImplILm256EEEvNSG_9VariantIDEEUllllE_EEENS0_24HipStatementListExecutorISM_NS3_4listIJNS_9statement3ForILl1ENS_6policy3hip11hip_indexerINS_17iteration_mapping6DirectELNS_23kernel_sync_requirementE0EJNS_3hip11IndexGlobalILNS_9named_dimE1ELi8ELi0EEEEEEJNSQ_ILl2ENST_ISV_LSW_0EJNSY_ILSZ_0ELi32ELi0EEEEEEJNSP_6LambdaILl0EJEEEEEEEEEEEENS0_9LoopTypesINSO_IJlvvEEES1A_EEEEEEvT0_: ; @_ZN4RAJA8internal22HipKernelLauncherFixedILi256ENS0_8LoopDataIN4camp5tupleIJNS_4SpanINS_9Iterators16numeric_iteratorIllPlEElEESA_SA_EEENS4_IJEEENS3_9resources2v13HipEJZN8rajaperf9polybench24POLYBENCH_FLOYD_WARSHALL17runHipVariantImplILm256EEEvNSG_9VariantIDEEUllllE_EEENS0_24HipStatementListExecutorISM_NS3_4listIJNS_9statement3ForILl1ENS_6policy3hip11hip_indexerINS_17iteration_mapping6DirectELNS_23kernel_sync_requirementE0EJNS_3hip11IndexGlobalILNS_9named_dimE1ELi8ELi0EEEEEEJNSQ_ILl2ENST_ISV_LSW_0EJNSY_ILSZ_0ELi32ELi0EEEEEEJNSP_6LambdaILl0EJEEEEEEEEEEEENS0_9LoopTypesINSO_IJlvvEEES1A_EEEEEEvT0_
; %bb.0:
	s_load_dwordx8 s[8:15], s[4:5], 0x10
	s_mov_b32 s0, s7
	s_mov_b32 s1, 0
	s_mov_b32 s7, s1
	s_waitcnt lgkmcnt(0)
	s_sub_u32 s2, s10, s8
	s_subb_u32 s3, s11, s9
	s_lshl_b64 s[10:11], s[0:1], 3
	v_mov_b32_e32 v2, s11
	v_add_co_u32_e32 v1, vcc, s10, v1
	v_addc_co_u32_e32 v2, vcc, 0, v2, vcc
	v_cmp_gt_i64_e32 vcc, s[2:3], v[1:2]
	s_sub_u32 s2, s14, s12
	s_subb_u32 s3, s15, s13
	s_lshl_b64 s[0:1], s[6:7], 5
	v_mov_b32_e32 v4, s1
	v_add_co_u32_e64 v3, s[0:1], s0, v0
	v_addc_co_u32_e64 v4, s[0:1], 0, v4, s[0:1]
	v_cmp_gt_i64_e64 s[0:1], s[2:3], v[3:4]
	s_and_b64 s[0:1], vcc, s[0:1]
	s_and_saveexec_b64 s[2:3], s[0:1]
	s_cbranch_execz .LBB2_2
; %bb.1:
	s_load_dwordx2 s[0:1], s[4:5], 0x0
	s_load_dwordx2 s[2:3], s[4:5], 0xd8
	;; [unrolled: 1-line block ×5, first 2 shown]
	v_mov_b32_e32 v0, s9
	v_add_co_u32_e32 v12, vcc, s8, v1
	s_waitcnt lgkmcnt(0)
	s_add_u32 s0, s0, s2
	v_addc_co_u32_e32 v13, vcc, v0, v2, vcc
	s_addc_u32 s1, s1, s3
	v_mul_lo_u32 v6, s7, v12
	v_mul_lo_u32 v7, s6, v13
	v_mad_u64_u32 v[0:1], s[2:3], s6, v12, 0
	v_mov_b32_e32 v5, s13
	v_add_co_u32_e32 v2, vcc, s12, v3
	v_addc_co_u32_e32 v3, vcc, v5, v4, vcc
	v_lshlrev_b64 v[2:3], 3, v[2:3]
	v_add3_u32 v1, v1, v7, v6
	s_lshl_b64 s[2:3], s[0:1], 3
	v_mov_b32_e32 v4, s11
	v_add_co_u32_e32 v14, vcc, s10, v2
	v_lshlrev_b64 v[0:1], 3, v[0:1]
	s_add_u32 s2, s10, s2
	v_addc_co_u32_e32 v15, vcc, v4, v3, vcc
	s_addc_u32 s3, s11, s3
	v_mov_b32_e32 v5, s3
	v_add_co_u32_e32 v4, vcc, s2, v0
	s_mul_i32 s2, s0, s7
	s_mul_hi_u32 s3, s0, s6
	s_add_i32 s2, s3, s2
	s_mul_i32 s1, s1, s6
	s_add_i32 s1, s2, s1
	s_mul_i32 s0, s0, s6
	v_addc_co_u32_e32 v5, vcc, v5, v1, vcc
	s_lshl_b64 s[0:1], s[0:1], 3
	v_mov_b32_e32 v7, s1
	v_add_co_u32_e32 v6, vcc, s0, v14
	v_addc_co_u32_e32 v7, vcc, v15, v7, vcc
	global_load_dwordx2 v[8:9], v[4:5], off
	global_load_dwordx2 v[10:11], v[6:7], off
	v_add_co_u32_e32 v0, vcc, v14, v0
	v_addc_co_u32_e32 v1, vcc, v15, v1, vcc
	global_load_dwordx2 v[0:1], v[0:1], off
	s_load_dwordx2 s[0:1], s[4:5], 0x48
	v_mad_u64_u32 v[6:7], s[2:3], s14, v12, 0
	s_waitcnt vmcnt(1)
	v_add_f64 v[4:5], v[8:9], v[10:11]
	v_mul_lo_u32 v8, s15, v12
	v_mul_lo_u32 v9, s14, v13
	s_waitcnt lgkmcnt(0)
	v_mov_b32_e32 v10, s1
	v_add_co_u32_e64 v11, s[0:1], s0, v2
	v_add3_u32 v7, v7, v9, v8
	v_addc_co_u32_e64 v10, s[0:1], v10, v3, s[0:1]
	s_waitcnt vmcnt(0)
	v_cmp_lt_f64_e32 vcc, v[0:1], v[4:5]
	v_lshlrev_b64 v[2:3], 3, v[6:7]
	v_cndmask_b32_e32 v1, v5, v1, vcc
	v_cndmask_b32_e32 v0, v4, v0, vcc
	v_add_co_u32_e32 v2, vcc, v11, v2
	v_addc_co_u32_e32 v3, vcc, v10, v3, vcc
	global_store_dwordx2 v[2:3], v[0:1], off
.LBB2_2:
	s_endpgm
	.section	.rodata,"a",@progbits
	.p2align	6, 0x0
	.amdhsa_kernel _ZN4RAJA8internal22HipKernelLauncherFixedILi256ENS0_8LoopDataIN4camp5tupleIJNS_4SpanINS_9Iterators16numeric_iteratorIllPlEElEESA_SA_EEENS4_IJEEENS3_9resources2v13HipEJZN8rajaperf9polybench24POLYBENCH_FLOYD_WARSHALL17runHipVariantImplILm256EEEvNSG_9VariantIDEEUllllE_EEENS0_24HipStatementListExecutorISM_NS3_4listIJNS_9statement3ForILl1ENS_6policy3hip11hip_indexerINS_17iteration_mapping6DirectELNS_23kernel_sync_requirementE0EJNS_3hip11IndexGlobalILNS_9named_dimE1ELi8ELi0EEEEEEJNSQ_ILl2ENST_ISV_LSW_0EJNSY_ILSZ_0ELi32ELi0EEEEEEJNSP_6LambdaILl0EJEEEEEEEEEEEENS0_9LoopTypesINSO_IJlvvEEES1A_EEEEEEvT0_
		.amdhsa_group_segment_fixed_size 0
		.amdhsa_private_segment_fixed_size 0
		.amdhsa_kernarg_size 256
		.amdhsa_user_sgpr_count 6
		.amdhsa_user_sgpr_private_segment_buffer 1
		.amdhsa_user_sgpr_dispatch_ptr 0
		.amdhsa_user_sgpr_queue_ptr 0
		.amdhsa_user_sgpr_kernarg_segment_ptr 1
		.amdhsa_user_sgpr_dispatch_id 0
		.amdhsa_user_sgpr_flat_scratch_init 0
		.amdhsa_user_sgpr_private_segment_size 0
		.amdhsa_uses_dynamic_stack 0
		.amdhsa_system_sgpr_private_segment_wavefront_offset 0
		.amdhsa_system_sgpr_workgroup_id_x 1
		.amdhsa_system_sgpr_workgroup_id_y 1
		.amdhsa_system_sgpr_workgroup_id_z 0
		.amdhsa_system_sgpr_workgroup_info 0
		.amdhsa_system_vgpr_workitem_id 1
		.amdhsa_next_free_vgpr 16
		.amdhsa_next_free_sgpr 16
		.amdhsa_reserve_vcc 1
		.amdhsa_reserve_flat_scratch 0
		.amdhsa_float_round_mode_32 0
		.amdhsa_float_round_mode_16_64 0
		.amdhsa_float_denorm_mode_32 3
		.amdhsa_float_denorm_mode_16_64 3
		.amdhsa_dx10_clamp 1
		.amdhsa_ieee_mode 1
		.amdhsa_fp16_overflow 0
		.amdhsa_exception_fp_ieee_invalid_op 0
		.amdhsa_exception_fp_denorm_src 0
		.amdhsa_exception_fp_ieee_div_zero 0
		.amdhsa_exception_fp_ieee_overflow 0
		.amdhsa_exception_fp_ieee_underflow 0
		.amdhsa_exception_fp_ieee_inexact 0
		.amdhsa_exception_int_div_zero 0
	.end_amdhsa_kernel
	.section	.text._ZN4RAJA8internal22HipKernelLauncherFixedILi256ENS0_8LoopDataIN4camp5tupleIJNS_4SpanINS_9Iterators16numeric_iteratorIllPlEElEESA_SA_EEENS4_IJEEENS3_9resources2v13HipEJZN8rajaperf9polybench24POLYBENCH_FLOYD_WARSHALL17runHipVariantImplILm256EEEvNSG_9VariantIDEEUllllE_EEENS0_24HipStatementListExecutorISM_NS3_4listIJNS_9statement3ForILl1ENS_6policy3hip11hip_indexerINS_17iteration_mapping6DirectELNS_23kernel_sync_requirementE0EJNS_3hip11IndexGlobalILNS_9named_dimE1ELi8ELi0EEEEEEJNSQ_ILl2ENST_ISV_LSW_0EJNSY_ILSZ_0ELi32ELi0EEEEEEJNSP_6LambdaILl0EJEEEEEEEEEEEENS0_9LoopTypesINSO_IJlvvEEES1A_EEEEEEvT0_,"axG",@progbits,_ZN4RAJA8internal22HipKernelLauncherFixedILi256ENS0_8LoopDataIN4camp5tupleIJNS_4SpanINS_9Iterators16numeric_iteratorIllPlEElEESA_SA_EEENS4_IJEEENS3_9resources2v13HipEJZN8rajaperf9polybench24POLYBENCH_FLOYD_WARSHALL17runHipVariantImplILm256EEEvNSG_9VariantIDEEUllllE_EEENS0_24HipStatementListExecutorISM_NS3_4listIJNS_9statement3ForILl1ENS_6policy3hip11hip_indexerINS_17iteration_mapping6DirectELNS_23kernel_sync_requirementE0EJNS_3hip11IndexGlobalILNS_9named_dimE1ELi8ELi0EEEEEEJNSQ_ILl2ENST_ISV_LSW_0EJNSY_ILSZ_0ELi32ELi0EEEEEEJNSP_6LambdaILl0EJEEEEEEEEEEEENS0_9LoopTypesINSO_IJlvvEEES1A_EEEEEEvT0_,comdat
.Lfunc_end2:
	.size	_ZN4RAJA8internal22HipKernelLauncherFixedILi256ENS0_8LoopDataIN4camp5tupleIJNS_4SpanINS_9Iterators16numeric_iteratorIllPlEElEESA_SA_EEENS4_IJEEENS3_9resources2v13HipEJZN8rajaperf9polybench24POLYBENCH_FLOYD_WARSHALL17runHipVariantImplILm256EEEvNSG_9VariantIDEEUllllE_EEENS0_24HipStatementListExecutorISM_NS3_4listIJNS_9statement3ForILl1ENS_6policy3hip11hip_indexerINS_17iteration_mapping6DirectELNS_23kernel_sync_requirementE0EJNS_3hip11IndexGlobalILNS_9named_dimE1ELi8ELi0EEEEEEJNSQ_ILl2ENST_ISV_LSW_0EJNSY_ILSZ_0ELi32ELi0EEEEEEJNSP_6LambdaILl0EJEEEEEEEEEEEENS0_9LoopTypesINSO_IJlvvEEES1A_EEEEEEvT0_, .Lfunc_end2-_ZN4RAJA8internal22HipKernelLauncherFixedILi256ENS0_8LoopDataIN4camp5tupleIJNS_4SpanINS_9Iterators16numeric_iteratorIllPlEElEESA_SA_EEENS4_IJEEENS3_9resources2v13HipEJZN8rajaperf9polybench24POLYBENCH_FLOYD_WARSHALL17runHipVariantImplILm256EEEvNSG_9VariantIDEEUllllE_EEENS0_24HipStatementListExecutorISM_NS3_4listIJNS_9statement3ForILl1ENS_6policy3hip11hip_indexerINS_17iteration_mapping6DirectELNS_23kernel_sync_requirementE0EJNS_3hip11IndexGlobalILNS_9named_dimE1ELi8ELi0EEEEEEJNSQ_ILl2ENST_ISV_LSW_0EJNSY_ILSZ_0ELi32ELi0EEEEEEJNSP_6LambdaILl0EJEEEEEEEEEEEENS0_9LoopTypesINSO_IJlvvEEES1A_EEEEEEvT0_
                                        ; -- End function
	.set _ZN4RAJA8internal22HipKernelLauncherFixedILi256ENS0_8LoopDataIN4camp5tupleIJNS_4SpanINS_9Iterators16numeric_iteratorIllPlEElEESA_SA_EEENS4_IJEEENS3_9resources2v13HipEJZN8rajaperf9polybench24POLYBENCH_FLOYD_WARSHALL17runHipVariantImplILm256EEEvNSG_9VariantIDEEUllllE_EEENS0_24HipStatementListExecutorISM_NS3_4listIJNS_9statement3ForILl1ENS_6policy3hip11hip_indexerINS_17iteration_mapping6DirectELNS_23kernel_sync_requirementE0EJNS_3hip11IndexGlobalILNS_9named_dimE1ELi8ELi0EEEEEEJNSQ_ILl2ENST_ISV_LSW_0EJNSY_ILSZ_0ELi32ELi0EEEEEEJNSP_6LambdaILl0EJEEEEEEEEEEEENS0_9LoopTypesINSO_IJlvvEEES1A_EEEEEEvT0_.num_vgpr, 16
	.set _ZN4RAJA8internal22HipKernelLauncherFixedILi256ENS0_8LoopDataIN4camp5tupleIJNS_4SpanINS_9Iterators16numeric_iteratorIllPlEElEESA_SA_EEENS4_IJEEENS3_9resources2v13HipEJZN8rajaperf9polybench24POLYBENCH_FLOYD_WARSHALL17runHipVariantImplILm256EEEvNSG_9VariantIDEEUllllE_EEENS0_24HipStatementListExecutorISM_NS3_4listIJNS_9statement3ForILl1ENS_6policy3hip11hip_indexerINS_17iteration_mapping6DirectELNS_23kernel_sync_requirementE0EJNS_3hip11IndexGlobalILNS_9named_dimE1ELi8ELi0EEEEEEJNSQ_ILl2ENST_ISV_LSW_0EJNSY_ILSZ_0ELi32ELi0EEEEEEJNSP_6LambdaILl0EJEEEEEEEEEEEENS0_9LoopTypesINSO_IJlvvEEES1A_EEEEEEvT0_.num_agpr, 0
	.set _ZN4RAJA8internal22HipKernelLauncherFixedILi256ENS0_8LoopDataIN4camp5tupleIJNS_4SpanINS_9Iterators16numeric_iteratorIllPlEElEESA_SA_EEENS4_IJEEENS3_9resources2v13HipEJZN8rajaperf9polybench24POLYBENCH_FLOYD_WARSHALL17runHipVariantImplILm256EEEvNSG_9VariantIDEEUllllE_EEENS0_24HipStatementListExecutorISM_NS3_4listIJNS_9statement3ForILl1ENS_6policy3hip11hip_indexerINS_17iteration_mapping6DirectELNS_23kernel_sync_requirementE0EJNS_3hip11IndexGlobalILNS_9named_dimE1ELi8ELi0EEEEEEJNSQ_ILl2ENST_ISV_LSW_0EJNSY_ILSZ_0ELi32ELi0EEEEEEJNSP_6LambdaILl0EJEEEEEEEEEEEENS0_9LoopTypesINSO_IJlvvEEES1A_EEEEEEvT0_.numbered_sgpr, 16
	.set _ZN4RAJA8internal22HipKernelLauncherFixedILi256ENS0_8LoopDataIN4camp5tupleIJNS_4SpanINS_9Iterators16numeric_iteratorIllPlEElEESA_SA_EEENS4_IJEEENS3_9resources2v13HipEJZN8rajaperf9polybench24POLYBENCH_FLOYD_WARSHALL17runHipVariantImplILm256EEEvNSG_9VariantIDEEUllllE_EEENS0_24HipStatementListExecutorISM_NS3_4listIJNS_9statement3ForILl1ENS_6policy3hip11hip_indexerINS_17iteration_mapping6DirectELNS_23kernel_sync_requirementE0EJNS_3hip11IndexGlobalILNS_9named_dimE1ELi8ELi0EEEEEEJNSQ_ILl2ENST_ISV_LSW_0EJNSY_ILSZ_0ELi32ELi0EEEEEEJNSP_6LambdaILl0EJEEEEEEEEEEEENS0_9LoopTypesINSO_IJlvvEEES1A_EEEEEEvT0_.num_named_barrier, 0
	.set _ZN4RAJA8internal22HipKernelLauncherFixedILi256ENS0_8LoopDataIN4camp5tupleIJNS_4SpanINS_9Iterators16numeric_iteratorIllPlEElEESA_SA_EEENS4_IJEEENS3_9resources2v13HipEJZN8rajaperf9polybench24POLYBENCH_FLOYD_WARSHALL17runHipVariantImplILm256EEEvNSG_9VariantIDEEUllllE_EEENS0_24HipStatementListExecutorISM_NS3_4listIJNS_9statement3ForILl1ENS_6policy3hip11hip_indexerINS_17iteration_mapping6DirectELNS_23kernel_sync_requirementE0EJNS_3hip11IndexGlobalILNS_9named_dimE1ELi8ELi0EEEEEEJNSQ_ILl2ENST_ISV_LSW_0EJNSY_ILSZ_0ELi32ELi0EEEEEEJNSP_6LambdaILl0EJEEEEEEEEEEEENS0_9LoopTypesINSO_IJlvvEEES1A_EEEEEEvT0_.private_seg_size, 0
	.set _ZN4RAJA8internal22HipKernelLauncherFixedILi256ENS0_8LoopDataIN4camp5tupleIJNS_4SpanINS_9Iterators16numeric_iteratorIllPlEElEESA_SA_EEENS4_IJEEENS3_9resources2v13HipEJZN8rajaperf9polybench24POLYBENCH_FLOYD_WARSHALL17runHipVariantImplILm256EEEvNSG_9VariantIDEEUllllE_EEENS0_24HipStatementListExecutorISM_NS3_4listIJNS_9statement3ForILl1ENS_6policy3hip11hip_indexerINS_17iteration_mapping6DirectELNS_23kernel_sync_requirementE0EJNS_3hip11IndexGlobalILNS_9named_dimE1ELi8ELi0EEEEEEJNSQ_ILl2ENST_ISV_LSW_0EJNSY_ILSZ_0ELi32ELi0EEEEEEJNSP_6LambdaILl0EJEEEEEEEEEEEENS0_9LoopTypesINSO_IJlvvEEES1A_EEEEEEvT0_.uses_vcc, 1
	.set _ZN4RAJA8internal22HipKernelLauncherFixedILi256ENS0_8LoopDataIN4camp5tupleIJNS_4SpanINS_9Iterators16numeric_iteratorIllPlEElEESA_SA_EEENS4_IJEEENS3_9resources2v13HipEJZN8rajaperf9polybench24POLYBENCH_FLOYD_WARSHALL17runHipVariantImplILm256EEEvNSG_9VariantIDEEUllllE_EEENS0_24HipStatementListExecutorISM_NS3_4listIJNS_9statement3ForILl1ENS_6policy3hip11hip_indexerINS_17iteration_mapping6DirectELNS_23kernel_sync_requirementE0EJNS_3hip11IndexGlobalILNS_9named_dimE1ELi8ELi0EEEEEEJNSQ_ILl2ENST_ISV_LSW_0EJNSY_ILSZ_0ELi32ELi0EEEEEEJNSP_6LambdaILl0EJEEEEEEEEEEEENS0_9LoopTypesINSO_IJlvvEEES1A_EEEEEEvT0_.uses_flat_scratch, 0
	.set _ZN4RAJA8internal22HipKernelLauncherFixedILi256ENS0_8LoopDataIN4camp5tupleIJNS_4SpanINS_9Iterators16numeric_iteratorIllPlEElEESA_SA_EEENS4_IJEEENS3_9resources2v13HipEJZN8rajaperf9polybench24POLYBENCH_FLOYD_WARSHALL17runHipVariantImplILm256EEEvNSG_9VariantIDEEUllllE_EEENS0_24HipStatementListExecutorISM_NS3_4listIJNS_9statement3ForILl1ENS_6policy3hip11hip_indexerINS_17iteration_mapping6DirectELNS_23kernel_sync_requirementE0EJNS_3hip11IndexGlobalILNS_9named_dimE1ELi8ELi0EEEEEEJNSQ_ILl2ENST_ISV_LSW_0EJNSY_ILSZ_0ELi32ELi0EEEEEEJNSP_6LambdaILl0EJEEEEEEEEEEEENS0_9LoopTypesINSO_IJlvvEEES1A_EEEEEEvT0_.has_dyn_sized_stack, 0
	.set _ZN4RAJA8internal22HipKernelLauncherFixedILi256ENS0_8LoopDataIN4camp5tupleIJNS_4SpanINS_9Iterators16numeric_iteratorIllPlEElEESA_SA_EEENS4_IJEEENS3_9resources2v13HipEJZN8rajaperf9polybench24POLYBENCH_FLOYD_WARSHALL17runHipVariantImplILm256EEEvNSG_9VariantIDEEUllllE_EEENS0_24HipStatementListExecutorISM_NS3_4listIJNS_9statement3ForILl1ENS_6policy3hip11hip_indexerINS_17iteration_mapping6DirectELNS_23kernel_sync_requirementE0EJNS_3hip11IndexGlobalILNS_9named_dimE1ELi8ELi0EEEEEEJNSQ_ILl2ENST_ISV_LSW_0EJNSY_ILSZ_0ELi32ELi0EEEEEEJNSP_6LambdaILl0EJEEEEEEEEEEEENS0_9LoopTypesINSO_IJlvvEEES1A_EEEEEEvT0_.has_recursion, 0
	.set _ZN4RAJA8internal22HipKernelLauncherFixedILi256ENS0_8LoopDataIN4camp5tupleIJNS_4SpanINS_9Iterators16numeric_iteratorIllPlEElEESA_SA_EEENS4_IJEEENS3_9resources2v13HipEJZN8rajaperf9polybench24POLYBENCH_FLOYD_WARSHALL17runHipVariantImplILm256EEEvNSG_9VariantIDEEUllllE_EEENS0_24HipStatementListExecutorISM_NS3_4listIJNS_9statement3ForILl1ENS_6policy3hip11hip_indexerINS_17iteration_mapping6DirectELNS_23kernel_sync_requirementE0EJNS_3hip11IndexGlobalILNS_9named_dimE1ELi8ELi0EEEEEEJNSQ_ILl2ENST_ISV_LSW_0EJNSY_ILSZ_0ELi32ELi0EEEEEEJNSP_6LambdaILl0EJEEEEEEEEEEEENS0_9LoopTypesINSO_IJlvvEEES1A_EEEEEEvT0_.has_indirect_call, 0
	.section	.AMDGPU.csdata,"",@progbits
; Kernel info:
; codeLenInByte = 456
; TotalNumSgprs: 20
; NumVgprs: 16
; ScratchSize: 0
; MemoryBound: 0
; FloatMode: 240
; IeeeMode: 1
; LDSByteSize: 0 bytes/workgroup (compile time only)
; SGPRBlocks: 2
; VGPRBlocks: 3
; NumSGPRsForWavesPerEU: 20
; NumVGPRsForWavesPerEU: 16
; Occupancy: 10
; WaveLimiterHint : 1
; COMPUTE_PGM_RSRC2:SCRATCH_EN: 0
; COMPUTE_PGM_RSRC2:USER_SGPR: 6
; COMPUTE_PGM_RSRC2:TRAP_HANDLER: 0
; COMPUTE_PGM_RSRC2:TGID_X_EN: 1
; COMPUTE_PGM_RSRC2:TGID_Y_EN: 1
; COMPUTE_PGM_RSRC2:TGID_Z_EN: 0
; COMPUTE_PGM_RSRC2:TIDIG_COMP_CNT: 1
	.section	.AMDGPU.gpr_maximums,"",@progbits
	.set amdgpu.max_num_vgpr, 0
	.set amdgpu.max_num_agpr, 0
	.set amdgpu.max_num_sgpr, 0
	.section	.AMDGPU.csdata,"",@progbits
	.type	__hip_cuid_fd446233599d7270,@object ; @__hip_cuid_fd446233599d7270
	.section	.bss,"aw",@nobits
	.globl	__hip_cuid_fd446233599d7270
__hip_cuid_fd446233599d7270:
	.byte	0                               ; 0x0
	.size	__hip_cuid_fd446233599d7270, 1

	.ident	"AMD clang version 22.0.0git (https://github.com/RadeonOpenCompute/llvm-project roc-7.2.4 26084 f58b06dce1f9c15707c5f808fd002e18c2accf7e)"
	.section	".note.GNU-stack","",@progbits
	.addrsig
	.addrsig_sym __hip_cuid_fd446233599d7270
	.amdgpu_metadata
---
amdhsa.kernels:
  - .args:
      - .address_space:  global
        .offset:         0
        .size:           8
        .value_kind:     global_buffer
      - .address_space:  global
        .offset:         8
        .size:           8
        .value_kind:     global_buffer
      - .offset:         16
        .size:           8
        .value_kind:     by_value
      - .offset:         24
        .size:           8
        .value_kind:     by_value
    .group_segment_fixed_size: 0
    .kernarg_segment_align: 8
    .kernarg_segment_size: 32
    .language:       OpenCL C
    .language_version:
      - 2
      - 0
    .max_flat_workgroup_size: 256
    .name:           _ZN8rajaperf9polybench19poly_floyd_warshallILm32ELm8EEEvPdS2_ll
    .private_segment_fixed_size: 0
    .sgpr_count:     20
    .sgpr_spill_count: 0
    .symbol:         _ZN8rajaperf9polybench19poly_floyd_warshallILm32ELm8EEEvPdS2_ll.kd
    .uniform_work_group_size: 1
    .uses_dynamic_stack: false
    .vgpr_count:     12
    .vgpr_spill_count: 0
    .wavefront_size: 64
  - .args:
      - .offset:         0
        .size:           8
        .value_kind:     by_value
      - .offset:         8
        .size:           32
        .value_kind:     by_value
    .group_segment_fixed_size: 0
    .kernarg_segment_align: 8
    .kernarg_segment_size: 40
    .language:       OpenCL C
    .language_version:
      - 2
      - 0
    .max_flat_workgroup_size: 256
    .name:           _ZN8rajaperf9polybench23poly_floyd_warshall_lamILm32ELm8EZNS0_24POLYBENCH_FLOYD_WARSHALL17runHipVariantImplILm256EEEvNS_9VariantIDEEUlllE_EEvlT1_
    .private_segment_fixed_size: 0
    .sgpr_count:     20
    .sgpr_spill_count: 0
    .symbol:         _ZN8rajaperf9polybench23poly_floyd_warshall_lamILm32ELm8EZNS0_24POLYBENCH_FLOYD_WARSHALL17runHipVariantImplILm256EEEvNS_9VariantIDEEUlllE_EEvlT1_.kd
    .uniform_work_group_size: 1
    .uses_dynamic_stack: false
    .vgpr_count:     14
    .vgpr_spill_count: 0
    .wavefront_size: 64
  - .args:
      - .offset:         0
        .size:           256
        .value_kind:     by_value
    .group_segment_fixed_size: 0
    .kernarg_segment_align: 8
    .kernarg_segment_size: 256
    .language:       OpenCL C
    .language_version:
      - 2
      - 0
    .max_flat_workgroup_size: 256
    .name:           _ZN4RAJA8internal22HipKernelLauncherFixedILi256ENS0_8LoopDataIN4camp5tupleIJNS_4SpanINS_9Iterators16numeric_iteratorIllPlEElEESA_SA_EEENS4_IJEEENS3_9resources2v13HipEJZN8rajaperf9polybench24POLYBENCH_FLOYD_WARSHALL17runHipVariantImplILm256EEEvNSG_9VariantIDEEUllllE_EEENS0_24HipStatementListExecutorISM_NS3_4listIJNS_9statement3ForILl1ENS_6policy3hip11hip_indexerINS_17iteration_mapping6DirectELNS_23kernel_sync_requirementE0EJNS_3hip11IndexGlobalILNS_9named_dimE1ELi8ELi0EEEEEEJNSQ_ILl2ENST_ISV_LSW_0EJNSY_ILSZ_0ELi32ELi0EEEEEEJNSP_6LambdaILl0EJEEEEEEEEEEEENS0_9LoopTypesINSO_IJlvvEEES1A_EEEEEEvT0_
    .private_segment_fixed_size: 0
    .sgpr_count:     20
    .sgpr_spill_count: 0
    .symbol:         _ZN4RAJA8internal22HipKernelLauncherFixedILi256ENS0_8LoopDataIN4camp5tupleIJNS_4SpanINS_9Iterators16numeric_iteratorIllPlEElEESA_SA_EEENS4_IJEEENS3_9resources2v13HipEJZN8rajaperf9polybench24POLYBENCH_FLOYD_WARSHALL17runHipVariantImplILm256EEEvNSG_9VariantIDEEUllllE_EEENS0_24HipStatementListExecutorISM_NS3_4listIJNS_9statement3ForILl1ENS_6policy3hip11hip_indexerINS_17iteration_mapping6DirectELNS_23kernel_sync_requirementE0EJNS_3hip11IndexGlobalILNS_9named_dimE1ELi8ELi0EEEEEEJNSQ_ILl2ENST_ISV_LSW_0EJNSY_ILSZ_0ELi32ELi0EEEEEEJNSP_6LambdaILl0EJEEEEEEEEEEEENS0_9LoopTypesINSO_IJlvvEEES1A_EEEEEEvT0_.kd
    .uniform_work_group_size: 1
    .uses_dynamic_stack: false
    .vgpr_count:     16
    .vgpr_spill_count: 0
    .wavefront_size: 64
amdhsa.target:   amdgcn-amd-amdhsa--gfx906
amdhsa.version:
  - 1
  - 2
...

	.end_amdgpu_metadata
